;; amdgpu-corpus repo=ROCm/rocFFT kind=compiled arch=gfx1100 opt=O3
	.text
	.amdgcn_target "amdgcn-amd-amdhsa--gfx1100"
	.amdhsa_code_object_version 6
	.protected	fft_rtc_back_len625_factors_5_5_5_5_wgs_125_tpt_125_half_op_CI_CI_sbrc_xy_z_unaligned ; -- Begin function fft_rtc_back_len625_factors_5_5_5_5_wgs_125_tpt_125_half_op_CI_CI_sbrc_xy_z_unaligned
	.globl	fft_rtc_back_len625_factors_5_5_5_5_wgs_125_tpt_125_half_op_CI_CI_sbrc_xy_z_unaligned
	.p2align	8
	.type	fft_rtc_back_len625_factors_5_5_5_5_wgs_125_tpt_125_half_op_CI_CI_sbrc_xy_z_unaligned,@function
fft_rtc_back_len625_factors_5_5_5_5_wgs_125_tpt_125_half_op_CI_CI_sbrc_xy_z_unaligned: ; @fft_rtc_back_len625_factors_5_5_5_5_wgs_125_tpt_125_half_op_CI_CI_sbrc_xy_z_unaligned
; %bb.0:
	s_clause 0x1
	s_load_b128 s[4:7], s[0:1], 0x10
	s_load_b64 s[2:3], s[0:1], 0x20
	s_mov_b32 s20, s15
	s_mov_b32 s21, 0
	s_mov_b64 s[22:23], 0
	s_waitcnt lgkmcnt(0)
	s_load_b128 s[16:19], s[4:5], 0x8
	s_load_b64 s[24:25], s[6:7], 0x10
	s_waitcnt lgkmcnt(0)
	s_mul_i32 s4, s16, s18
	s_delay_alu instid0(SALU_CYCLE_1) | instskip(SKIP_1) | instid1(VALU_DEP_1)
	v_cvt_f32_u32_e32 v1, s4
	s_sub_i32 s8, 0, s4
	v_rcp_iflag_f32_e32 v1, v1
	s_waitcnt_depctr 0xfff
	v_mul_f32_e32 v1, 0x4f7ffffe, v1
	s_delay_alu instid0(VALU_DEP_1) | instskip(NEXT) | instid1(VALU_DEP_1)
	v_cvt_u32_f32_e32 v1, v1
	v_readfirstlane_b32 s5, v1
	v_cvt_f32_u32_e32 v1, s16
	s_delay_alu instid0(VALU_DEP_2) | instskip(NEXT) | instid1(SALU_CYCLE_1)
	s_mul_i32 s8, s8, s5
	s_mul_hi_u32 s8, s5, s8
	s_delay_alu instid0(SALU_CYCLE_1) | instskip(NEXT) | instid1(SALU_CYCLE_1)
	s_add_i32 s5, s5, s8
	s_mul_hi_u32 s5, s15, s5
	s_load_b128 s[12:15], s[6:7], 0x0
	s_mul_i32 s8, s5, s4
	s_add_i32 s9, s5, 1
	s_sub_i32 s8, s20, s8
	s_delay_alu instid0(SALU_CYCLE_1)
	s_sub_i32 s10, s8, s4
	s_cmp_ge_u32 s8, s4
	s_cselect_b32 s5, s9, s5
	s_cselect_b32 s8, s10, s8
	s_add_i32 s9, s5, 1
	s_cmp_ge_u32 s8, s4
	s_cselect_b32 s19, s9, s5
	s_mov_b32 s5, s21
	s_mul_i32 s4, s19, s4
	s_delay_alu instid0(SALU_CYCLE_1) | instskip(NEXT) | instid1(SALU_CYCLE_1)
	s_sub_i32 s4, s20, s4
	v_cmp_lt_u64_e64 s5, s[4:5], s[16:17]
	s_delay_alu instid0(VALU_DEP_1)
	s_and_b32 vcc_lo, exec_lo, s5
	s_cbranch_vccnz .LBB0_2
; %bb.1:
	v_rcp_iflag_f32_e32 v2, v1
	s_sub_i32 s8, 0, s16
	s_waitcnt_depctr 0xfff
	v_mul_f32_e32 v2, 0x4f7ffffe, v2
	s_delay_alu instid0(VALU_DEP_1) | instskip(NEXT) | instid1(VALU_DEP_1)
	v_cvt_u32_f32_e32 v2, v2
	v_readfirstlane_b32 s5, v2
	s_delay_alu instid0(VALU_DEP_1) | instskip(NEXT) | instid1(SALU_CYCLE_1)
	s_mul_i32 s8, s8, s5
	s_mul_hi_u32 s8, s5, s8
	s_delay_alu instid0(SALU_CYCLE_1) | instskip(NEXT) | instid1(SALU_CYCLE_1)
	s_add_i32 s5, s5, s8
	s_mul_hi_u32 s5, s4, s5
	s_delay_alu instid0(SALU_CYCLE_1) | instskip(NEXT) | instid1(SALU_CYCLE_1)
	s_mul_i32 s8, s5, s16
	s_sub_i32 s4, s4, s8
	s_add_i32 s8, s5, 1
	s_sub_i32 s9, s4, s16
	s_cmp_ge_u32 s4, s16
	s_cselect_b32 s5, s8, s5
	s_cselect_b32 s4, s9, s4
	s_add_i32 s8, s5, 1
	s_cmp_ge_u32 s4, s16
	s_cselect_b32 s22, s8, s5
.LBB0_2:
	s_load_b64 s[26:27], s[0:1], 0x58
	v_cmp_lt_u64_e64 s4, s[20:21], s[16:17]
	s_delay_alu instid0(VALU_DEP_1)
	s_and_b32 vcc_lo, exec_lo, s4
	s_cbranch_vccnz .LBB0_4
; %bb.3:
	v_rcp_iflag_f32_e32 v1, v1
	s_sub_i32 s5, 0, s16
	s_waitcnt_depctr 0xfff
	v_mul_f32_e32 v1, 0x4f7ffffe, v1
	s_delay_alu instid0(VALU_DEP_1) | instskip(NEXT) | instid1(VALU_DEP_1)
	v_cvt_u32_f32_e32 v1, v1
	v_readfirstlane_b32 s4, v1
	s_delay_alu instid0(VALU_DEP_1) | instskip(NEXT) | instid1(SALU_CYCLE_1)
	s_mul_i32 s5, s5, s4
	s_mul_hi_u32 s5, s4, s5
	s_delay_alu instid0(SALU_CYCLE_1) | instskip(NEXT) | instid1(SALU_CYCLE_1)
	s_add_i32 s4, s4, s5
	s_mul_hi_u32 s4, s20, s4
	s_delay_alu instid0(SALU_CYCLE_1) | instskip(NEXT) | instid1(SALU_CYCLE_1)
	s_mul_i32 s4, s4, s16
	s_sub_i32 s4, s20, s4
	s_delay_alu instid0(SALU_CYCLE_1) | instskip(SKIP_2) | instid1(SALU_CYCLE_1)
	s_sub_i32 s5, s4, s16
	s_cmp_ge_u32 s4, s16
	s_cselect_b32 s4, s5, s4
	s_sub_i32 s5, s4, s16
	s_cmp_ge_u32 s4, s16
	s_cselect_b32 s20, s5, s4
.LBB0_4:
	s_load_b128 s[8:11], s[0:1], 0x0
	s_waitcnt lgkmcnt(0)
	s_mul_i32 s14, s20, s14
	s_mul_i32 s15, s22, s24
	s_delay_alu instid0(SALU_CYCLE_1) | instskip(SKIP_1) | instid1(SALU_CYCLE_1)
	s_add_i32 s14, s14, s15
	s_lshl_b64 s[4:5], s[10:11], 3
	s_add_u32 s6, s6, s4
	s_addc_u32 s7, s7, s5
	s_load_b64 s[6:7], s[6:7], 0x0
	s_waitcnt lgkmcnt(0)
	s_mul_i32 s7, s7, s19
	s_mul_hi_u32 s10, s6, s19
	s_mul_i32 s6, s6, s19
	s_add_i32 s10, s10, s7
	s_add_u32 s16, s14, s6
	s_addc_u32 s17, 0, s10
	s_add_u32 s10, s2, s4
	s_addc_u32 s11, s3, s5
	s_clause 0x2
	s_load_b128 s[4:7], s[2:3], 0x0
	s_load_b64 s[14:15], s[2:3], 0x10
	s_load_b64 s[10:11], s[10:11], 0x0
	s_cmp_lt_u32 s22, s18
	v_cmp_gt_u32_e64 s2, 0x271, v0
	s_waitcnt lgkmcnt(0)
	s_cselect_b32 s7, -1, 0
	s_mov_b32 s3, -1
	s_and_b32 vcc_lo, exec_lo, s7
	s_cbranch_vccnz .LBB0_9
; %bb.5:
	s_and_saveexec_b32 s3, s2
	s_cbranch_execz .LBB0_8
; %bb.6:
	s_lshl_b64 s[28:29], s[16:17], 2
	v_lshl_add_u32 v1, v0, 2, 0
	v_mov_b32_e32 v2, v0
	s_add_u32 s2, s26, s28
	s_addc_u32 s15, s27, s29
	s_mov_b32 s18, 0
	.p2align	6
.LBB0_7:                                ; =>This Inner Loop Header: Depth=1
	v_add_nc_u32_e32 v7, s21, v0
	v_add_nc_u32_e32 v2, 0x7d, v2
	s_addk_i32 s21, 0x7d
	s_delay_alu instid0(VALU_DEP_2) | instskip(NEXT) | instid1(VALU_DEP_1)
	v_mad_u64_u32 v[3:4], null, s12, v7, 0
	v_mad_u64_u32 v[5:6], null, s13, v7, v[4:5]
	s_delay_alu instid0(VALU_DEP_1) | instskip(NEXT) | instid1(VALU_DEP_1)
	v_mov_b32_e32 v4, v5
	v_lshlrev_b64 v[3:4], 2, v[3:4]
	s_delay_alu instid0(VALU_DEP_1) | instskip(NEXT) | instid1(VALU_DEP_2)
	v_add_co_u32 v3, vcc_lo, s2, v3
	v_add_co_ci_u32_e32 v4, vcc_lo, s15, v4, vcc_lo
	v_cmp_lt_u32_e32 vcc_lo, 0x270, v2
	global_load_b32 v3, v[3:4], off
	s_or_b32 s18, vcc_lo, s18
	s_waitcnt vmcnt(0)
	ds_store_b32 v1, v3
	v_add_nc_u32_e32 v1, 0x1f4, v1
	s_and_not1_b32 exec_lo, exec_lo, s18
	s_cbranch_execnz .LBB0_7
.LBB0_8:
	s_or_b32 exec_lo, exec_lo, s3
	s_mov_b32 s3, 0
.LBB0_9:
	v_lshl_add_u32 v1, v0, 2, 0
	s_and_not1_b32 vcc_lo, exec_lo, s3
	s_cbranch_vccnz .LBB0_11
; %bb.10:
	v_dual_mov_b32 v5, 0 :: v_dual_add_nc_u32 v2, 0xfffffd8f, v0
	v_cmp_gt_u32_e32 vcc_lo, 0x271, v0
	v_mov_b32_e32 v3, 0x7d
	v_add_nc_u32_e32 v14, 0x1f4, v0
	v_add_nc_u32_e32 v15, 0xfa, v0
	;; [unrolled: 1-line block ×3, first 2 shown]
	v_cndmask_b32_e32 v10, v2, v0, vcc_lo
	v_cmp_gt_u32_e32 vcc_lo, 0x1f4, v0
	v_mul_u32_u24_e32 v11, 0x69, v14
	s_lshl_b64 s[2:3], s[16:17], 2
	s_delay_alu instid0(SALU_CYCLE_1)
	s_add_u32 s2, s26, s2
	v_cndmask_b32_e32 v6, 0xfffffe0c, v3, vcc_lo
	v_cmp_lt_u32_e32 vcc_lo, 0x270, v0
	v_mad_u64_u32 v[2:3], null, s12, v10, 0
	v_lshrrev_b32_e32 v22, 16, v11
	s_addc_u32 s3, s27, s3
	v_cndmask_b32_e64 v4, 0, s24, vcc_lo
	v_cmp_lt_u32_e32 vcc_lo, 0x1f3, v0
	s_delay_alu instid0(VALU_DEP_3) | instskip(NEXT) | instid1(VALU_DEP_3)
	v_mul_lo_u16 v16, 0x271, v22
	v_mad_u64_u32 v[8:9], null, s13, v10, v[3:4]
	v_mad_u64_u32 v[9:10], null, s12, v15, 0
	s_delay_alu instid0(VALU_DEP_2) | instskip(SKIP_1) | instid1(VALU_DEP_2)
	v_mov_b32_e32 v3, v8
	v_add_nc_u32_e32 v13, v0, v6
	v_lshlrev_b64 v[2:3], 2, v[2:3]
	s_delay_alu instid0(VALU_DEP_2) | instskip(NEXT) | instid1(VALU_DEP_1)
	v_mad_u64_u32 v[6:7], null, s12, v13, 0
	v_mad_u64_u32 v[11:12], null, s13, v13, v[7:8]
	v_mov_b32_e32 v8, v10
	v_lshlrev_b64 v[12:13], 2, v[4:5]
	v_sub_nc_u16 v7, v14, v16
	v_mad_u64_u32 v[16:17], null, s12, v24, 0
	v_cndmask_b32_e64 v4, 0, s24, vcc_lo
	v_add_co_u32 v10, vcc_lo, s2, v2
	v_add_co_ci_u32_e32 v18, vcc_lo, s3, v3, vcc_lo
	v_and_b32_e32 v23, 0xffff, v7
	v_mov_b32_e32 v7, v11
	s_delay_alu instid0(VALU_DEP_4) | instskip(NEXT) | instid1(VALU_DEP_4)
	v_add_co_u32 v11, vcc_lo, v10, v12
	v_add_co_ci_u32_e32 v12, vcc_lo, v18, v13, vcc_lo
	v_lshlrev_b64 v[18:19], 2, v[4:5]
	v_mov_b32_e32 v4, v17
	v_mad_u64_u32 v[2:3], null, s13, v15, v[8:9]
	v_lshlrev_b64 v[6:7], 2, v[6:7]
	s_delay_alu instid0(VALU_DEP_2) | instskip(SKIP_1) | instid1(VALU_DEP_1)
	v_mov_b32_e32 v10, v2
	v_mad_u64_u32 v[14:15], null, s12, v23, 0
	v_mov_b32_e32 v3, v15
	s_delay_alu instid0(VALU_DEP_1) | instskip(SKIP_3) | instid1(VALU_DEP_4)
	v_mad_u64_u32 v[20:21], null, s13, v23, v[3:4]
	v_mad_u64_u32 v[2:3], null, s13, v24, v[4:5]
	v_add_co_u32 v3, vcc_lo, s2, v6
	v_add_co_ci_u32_e32 v4, vcc_lo, s3, v7, vcc_lo
	v_mov_b32_e32 v15, v20
	v_lshlrev_b64 v[6:7], 2, v[9:10]
	s_delay_alu instid0(VALU_DEP_4) | instskip(NEXT) | instid1(VALU_DEP_4)
	v_add_co_u32 v8, vcc_lo, v3, v18
	v_add_co_ci_u32_e32 v9, vcc_lo, v4, v19, vcc_lo
	v_mov_b32_e32 v17, v2
	v_mul_lo_u32 v4, s24, v22
	v_lshlrev_b64 v[2:3], 2, v[14:15]
	v_add_co_u32 v6, vcc_lo, s2, v6
	v_add_co_ci_u32_e32 v7, vcc_lo, s3, v7, vcc_lo
	v_lshlrev_b64 v[13:14], 2, v[16:17]
	s_delay_alu instid0(VALU_DEP_4) | instskip(SKIP_2) | instid1(VALU_DEP_4)
	v_add_co_u32 v10, vcc_lo, s2, v2
	v_add_co_ci_u32_e32 v15, vcc_lo, s3, v3, vcc_lo
	v_lshlrev_b64 v[2:3], 2, v[4:5]
	v_add_co_u32 v4, vcc_lo, s2, v13
	v_add_co_ci_u32_e32 v5, vcc_lo, s3, v14, vcc_lo
	s_delay_alu instid0(VALU_DEP_3) | instskip(NEXT) | instid1(VALU_DEP_4)
	v_add_co_u32 v2, vcc_lo, v10, v2
	v_add_co_ci_u32_e32 v3, vcc_lo, v15, v3, vcc_lo
	s_clause 0x4
	global_load_b32 v10, v[11:12], off
	global_load_b32 v8, v[8:9], off
	;; [unrolled: 1-line block ×5, first 2 shown]
	v_add_nc_u32_e32 v3, 0x200, v1
	s_waitcnt vmcnt(3)
	ds_store_2addr_b32 v1, v10, v8 offset1:125
	s_waitcnt vmcnt(1)
	ds_store_2addr_b32 v3, v6, v4 offset0:122 offset1:247
	s_waitcnt vmcnt(0)
	ds_store_b32 v1, v2 offset:2000
.LBB0_11:
	v_mul_u32_u24_e32 v2, 0x20d, v0
	s_waitcnt lgkmcnt(0)
	s_barrier
	buffer_gl0_inv
	s_mov_b32 s3, 0
	v_lshrrev_b32_e32 v2, 16, v2
	s_and_not1_b32 vcc_lo, exec_lo, s7
	s_delay_alu instid0(VALU_DEP_1) | instskip(NEXT) | instid1(VALU_DEP_1)
	v_mul_lo_u16 v2, 0x7d, v2
	v_sub_nc_u16 v12, v0, v2
	s_delay_alu instid0(VALU_DEP_1) | instskip(SKIP_1) | instid1(VALU_DEP_2)
	v_and_b32_e32 v8, 0xffff, v12
	v_mul_lo_u16 v10, 0x67, v12
	v_lshl_add_u32 v2, v8, 2, 0
	s_delay_alu instid0(VALU_DEP_2) | instskip(SKIP_1) | instid1(VALU_DEP_3)
	v_lshrrev_b16 v13, 9, v10
	v_lshlrev_b32_e32 v14, 4, v8
	v_add_nc_u32_e32 v3, 0x200, v2
	ds_load_2addr_b32 v[4:5], v2 offset1:125
	ds_load_b32 v9, v2 offset:2000
	v_mul_lo_u16 v8, v13, 5
	v_add_nc_u32_e32 v10, v2, v14
	ds_load_2addr_b32 v[6:7], v3 offset0:122 offset1:247
	s_waitcnt lgkmcnt(0)
	s_barrier
	v_sub_nc_u16 v8, v12, v8
	buffer_gl0_inv
	v_and_b32_e32 v13, 0xffff, v13
	v_and_b32_e32 v16, 0xff, v8
	s_delay_alu instid0(VALU_DEP_2)
	v_mul_u32_u24_e32 v13, 0x64, v13
	v_pk_add_f16 v11, v4, v5
	v_pk_add_f16 v15, v5, v9 neg_lo:[0,1] neg_hi:[0,1]
	v_pk_add_f16 v8, v5, v9
	v_pk_add_f16 v17, v6, v7
	v_pk_add_f16 v19, v6, v7 neg_lo:[0,1] neg_hi:[0,1]
	v_pk_add_f16 v11, v11, v6
	v_pk_mul_f16 v18, 0x3b9c, v15 op_sel_hi:[0,1]
	v_pk_add_f16 v20, v5, v6 neg_lo:[0,1] neg_hi:[0,1]
	v_pk_fma_f16 v8, v8, 0.5, v4 op_sel_hi:[1,0,1] neg_lo:[1,0,0] neg_hi:[1,0,0]
	v_pk_fma_f16 v4, v17, 0.5, v4 op_sel_hi:[1,0,1] neg_lo:[1,0,0] neg_hi:[1,0,0]
	v_pk_add_f16 v5, v6, v5 neg_lo:[0,1] neg_hi:[0,1]
	v_pk_mul_f16 v6, 0x3b9c, v19 op_sel_hi:[0,1]
	v_pk_mul_f16 v15, 0x38b4, v15 op_sel_hi:[0,1]
	;; [unrolled: 1-line block ×3, first 2 shown]
	v_pk_add_f16 v19, v4, v18 op_sel:[0,1] op_sel_hi:[1,0] neg_lo:[0,1] neg_hi:[0,1]
	v_pk_add_f16 v4, v4, v18 op_sel:[0,1] op_sel_hi:[1,0]
	v_pk_add_f16 v18, v8, v6 op_sel:[0,1] op_sel_hi:[1,0]
	v_pk_add_f16 v6, v8, v6 op_sel:[0,1] op_sel_hi:[1,0] neg_lo:[0,1] neg_hi:[0,1]
	v_pk_add_f16 v21, v9, v7 neg_lo:[0,1] neg_hi:[0,1]
	v_pk_add_f16 v8, v7, v9 neg_lo:[0,1] neg_hi:[0,1]
	v_pk_add_f16 v19, v19, v17 op_sel:[0,1] op_sel_hi:[1,0] neg_lo:[0,1] neg_hi:[0,1]
	v_pk_add_f16 v4, v4, v17 op_sel:[0,1] op_sel_hi:[1,0]
	v_pk_add_f16 v17, v18, v15 op_sel:[0,1] op_sel_hi:[1,0] neg_lo:[0,1] neg_hi:[0,1]
	v_pk_add_f16 v6, v6, v15 op_sel:[0,1] op_sel_hi:[1,0]
	v_pk_add_f16 v7, v11, v7
	v_pk_add_f16 v11, v20, v21
	;; [unrolled: 1-line block ×3, first 2 shown]
	v_bfi_b32 v8, 0xffff, v19, v4
	v_bfi_b32 v15, 0xffff, v17, v6
	;; [unrolled: 1-line block ×4, first 2 shown]
	v_pk_add_f16 v7, v7, v9
	v_pk_fma_f16 v8, 0x34f2, v11, v8 op_sel_hi:[0,1,1]
	v_pk_fma_f16 v9, 0x34f2, v5, v15 op_sel_hi:[0,1,1]
	;; [unrolled: 1-line block ×3, first 2 shown]
	v_lshlrev_b32_e32 v6, 4, v16
	v_pk_fma_f16 v4, 0x34f2, v11, v4 op_sel_hi:[0,1,1]
	ds_store_2addr_b32 v10, v7, v8 offset1:1
	ds_store_2addr_b32 v10, v9, v5 offset0:2 offset1:3
	ds_store_b32 v10, v4 offset:16
	s_waitcnt lgkmcnt(0)
	s_barrier
	buffer_gl0_inv
	global_load_b128 v[4:7], v6, s[8:9]
	v_mul_lo_u16 v8, v12, 41
	v_lshlrev_b32_e32 v16, 2, v16
	s_delay_alu instid0(VALU_DEP_2)
	v_lshrrev_b16 v15, 10, v8
	ds_load_2addr_b32 v[8:9], v2 offset1:125
	ds_load_2addr_b32 v[10:11], v3 offset0:122 offset1:247
	ds_load_b32 v18, v2 offset:2000
	v_add3_u32 v13, 0, v13, v16
	v_mul_lo_u16 v17, v15, 25
	v_and_b32_e32 v15, 0xffff, v15
	s_delay_alu instid0(VALU_DEP_2)
	v_sub_nc_u16 v12, v12, v17
	ds_load_u16 v17, v2 offset:2
	s_waitcnt vmcnt(0) lgkmcnt(0)
	s_barrier
	buffer_gl0_inv
	v_and_b32_e32 v12, 0xff, v12
	v_mul_u32_u24_e32 v15, 0x1f4, v15
	v_lshrrev_b32_e32 v16, 16, v9
	v_lshrrev_b32_e32 v20, 16, v10
	;; [unrolled: 1-line block ×4, first 2 shown]
	v_lshlrev_b32_e32 v19, 4, v12
	v_lshlrev_b32_e32 v12, 2, v12
	s_delay_alu instid0(VALU_DEP_1) | instskip(SKIP_4) | instid1(VALU_DEP_4)
	v_add3_u32 v12, 0, v15, v12
	v_lshrrev_b32_e32 v22, 16, v4
	v_lshrrev_b32_e32 v24, 16, v5
	;; [unrolled: 1-line block ×4, first 2 shown]
	v_mul_f16_e32 v27, v22, v16
	v_mul_f16_e32 v22, v22, v9
	;; [unrolled: 1-line block ×8, first 2 shown]
	v_fmac_f16_e32 v27, v4, v9
	v_fma_f16 v4, v4, v16, -v22
	v_fmac_f16_e32 v28, v5, v10
	v_fma_f16 v5, v5, v20, -v24
	v_fmac_f16_e32 v29, v6, v11
	v_fma_f16 v6, v6, v21, -v25
	v_fmac_f16_e32 v30, v7, v18
	v_fma_f16 v9, v7, v23, -v26
	v_add_f16_e32 v24, v17, v4
	v_add_f16_e32 v10, v28, v29
	;; [unrolled: 1-line block ×6, first 2 shown]
	v_sub_f16_e32 v11, v4, v9
	v_sub_f16_e32 v16, v5, v6
	;; [unrolled: 1-line block ×9, first 2 shown]
	v_fma_f16 v10, -0.5, v10, v8
	v_fmac_f16_e32 v8, -0.5, v21
	v_add_f16_e32 v5, v24, v5
	v_fma_f16 v21, -0.5, v25, v17
	v_sub_f16_e32 v27, v28, v29
	v_fmac_f16_e32 v17, -0.5, v33
	v_sub_f16_e32 v32, v9, v6
	v_sub_f16_e32 v34, v6, v9
	v_add_f16_e32 v7, v7, v28
	v_add_f16_e32 v18, v18, v20
	v_add_f16_e32 v20, v22, v23
	v_fmamk_f16 v23, v11, 0xbb9c, v10
	v_add_f16_e32 v5, v5, v6
	v_fmamk_f16 v6, v26, 0x3b9c, v21
	v_fmamk_f16 v24, v16, 0x3b9c, v8
	v_fmac_f16_e32 v8, 0xbb9c, v16
	v_fmamk_f16 v25, v27, 0xbb9c, v17
	v_fmac_f16_e32 v17, 0x3b9c, v27
	v_fmac_f16_e32 v10, 0x3b9c, v11
	;; [unrolled: 1-line block ×3, first 2 shown]
	v_add_f16_e32 v22, v31, v32
	v_add_f16_e32 v7, v7, v29
	v_fmac_f16_e32 v23, 0xb8b4, v16
	v_fmac_f16_e32 v6, 0x38b4, v27
	v_add_f16_e32 v4, v4, v34
	v_fmac_f16_e32 v24, 0xb8b4, v11
	v_fmac_f16_e32 v8, 0x38b4, v11
	;; [unrolled: 1-line block ×6, first 2 shown]
	v_add_f16_e32 v7, v7, v30
	v_add_f16_e32 v5, v5, v9
	v_fmac_f16_e32 v23, 0x34f2, v18
	v_fmac_f16_e32 v6, 0x34f2, v22
	;; [unrolled: 1-line block ×8, first 2 shown]
	v_pack_b32_f16 v4, v7, v5
	v_pack_b32_f16 v5, v23, v6
	;; [unrolled: 1-line block ×5, first 2 shown]
	ds_store_2addr_b32 v13, v4, v5 offset1:5
	ds_store_2addr_b32 v13, v6, v7 offset0:10 offset1:15
	ds_store_b32 v13, v8 offset:80
	s_waitcnt lgkmcnt(0)
	s_barrier
	buffer_gl0_inv
	global_load_b128 v[4:7], v19, s[8:9] offset:80
	ds_load_2addr_b32 v[8:9], v2 offset1:125
	ds_load_2addr_b32 v[10:11], v3 offset0:122 offset1:247
	ds_load_b32 v13, v2 offset:2000
	ds_load_u16 v16, v2 offset:2
	s_waitcnt vmcnt(0) lgkmcnt(0)
	s_barrier
	buffer_gl0_inv
	v_lshrrev_b32_e32 v15, 16, v9
	v_lshrrev_b32_e32 v17, 16, v10
	;; [unrolled: 1-line block ×8, first 2 shown]
	s_delay_alu instid0(VALU_DEP_4)
	v_mul_f16_e32 v24, v19, v15
	v_mul_f16_e32 v19, v19, v9
	;; [unrolled: 1-line block ×8, first 2 shown]
	v_fmac_f16_e32 v24, v4, v9
	v_fma_f16 v4, v4, v15, -v19
	v_fmac_f16_e32 v25, v5, v10
	v_fma_f16 v5, v5, v17, -v21
	;; [unrolled: 2-line block ×4, first 2 shown]
	v_add_f16_e32 v21, v16, v4
	v_add_f16_e32 v10, v25, v26
	;; [unrolled: 1-line block ×6, first 2 shown]
	v_sub_f16_e32 v11, v4, v9
	v_sub_f16_e32 v13, v5, v6
	;; [unrolled: 1-line block ×9, first 2 shown]
	v_fma_f16 v10, -0.5, v10, v8
	v_fmac_f16_e32 v8, -0.5, v18
	v_add_f16_e32 v5, v21, v5
	v_fma_f16 v18, -0.5, v22, v16
	v_sub_f16_e32 v24, v25, v26
	v_fmac_f16_e32 v16, -0.5, v30
	v_sub_f16_e32 v29, v9, v6
	v_sub_f16_e32 v31, v6, v9
	v_add_f16_e32 v7, v7, v25
	v_add_f16_e32 v15, v15, v17
	;; [unrolled: 1-line block ×3, first 2 shown]
	v_fmamk_f16 v20, v11, 0xbb9c, v10
	v_add_f16_e32 v5, v5, v6
	v_fmamk_f16 v6, v23, 0x3b9c, v18
	v_fmamk_f16 v21, v13, 0x3b9c, v8
	v_fmac_f16_e32 v8, 0xbb9c, v13
	v_fmamk_f16 v22, v24, 0xbb9c, v16
	v_fmac_f16_e32 v16, 0x3b9c, v24
	v_fmac_f16_e32 v10, 0x3b9c, v11
	;; [unrolled: 1-line block ×3, first 2 shown]
	v_add_f16_e32 v19, v28, v29
	v_add_f16_e32 v7, v7, v26
	v_fmac_f16_e32 v20, 0xb8b4, v13
	v_fmac_f16_e32 v6, 0x38b4, v24
	v_add_f16_e32 v4, v4, v31
	v_fmac_f16_e32 v21, 0xb8b4, v11
	v_fmac_f16_e32 v8, 0x38b4, v11
	;; [unrolled: 1-line block ×6, first 2 shown]
	v_add_f16_e32 v7, v7, v27
	v_add_f16_e32 v5, v5, v9
	v_fmac_f16_e32 v20, 0x34f2, v15
	v_fmac_f16_e32 v6, 0x34f2, v19
	;; [unrolled: 1-line block ×8, first 2 shown]
	v_pack_b32_f16 v4, v7, v5
	v_pack_b32_f16 v5, v20, v6
	;; [unrolled: 1-line block ×5, first 2 shown]
	ds_store_2addr_b32 v12, v4, v5 offset1:25
	ds_store_2addr_b32 v12, v6, v7 offset0:50 offset1:75
	ds_store_b32 v12, v8 offset:400
	s_waitcnt lgkmcnt(0)
	s_barrier
	buffer_gl0_inv
	global_load_b128 v[4:7], v14, s[8:9] offset:480
	ds_load_2addr_b32 v[8:9], v2 offset1:125
	ds_load_2addr_b32 v[10:11], v3 offset0:122 offset1:247
	ds_load_b32 v12, v2 offset:2000
	ds_load_u16 v13, v2 offset:2
	s_waitcnt vmcnt(0) lgkmcnt(0)
	s_barrier
	buffer_gl0_inv
	v_lshrrev_b32_e32 v14, 16, v9
	v_lshrrev_b32_e32 v15, 16, v10
	;; [unrolled: 1-line block ×8, first 2 shown]
	s_delay_alu instid0(VALU_DEP_4)
	v_mul_f16_e32 v22, v17, v14
	v_mul_f16_e32 v17, v17, v9
	;; [unrolled: 1-line block ×8, first 2 shown]
	v_fmac_f16_e32 v22, v4, v9
	v_fma_f16 v4, v4, v14, -v17
	v_fmac_f16_e32 v23, v5, v10
	v_fma_f16 v5, v5, v15, -v19
	;; [unrolled: 2-line block ×4, first 2 shown]
	v_add_f16_e32 v19, v13, v4
	v_add_f16_e32 v10, v23, v24
	v_add_f16_e32 v20, v5, v6
	v_add_f16_e32 v16, v22, v25
	v_add_f16_e32 v28, v4, v9
	v_add_f16_e32 v7, v22, v8
	v_sub_f16_e32 v11, v4, v9
	v_sub_f16_e32 v12, v5, v6
	;; [unrolled: 1-line block ×9, first 2 shown]
	v_fma_f16 v10, -0.5, v10, v8
	v_fmac_f16_e32 v8, -0.5, v16
	v_add_f16_e32 v5, v19, v5
	v_fma_f16 v16, -0.5, v20, v13
	v_sub_f16_e32 v22, v23, v24
	v_fmac_f16_e32 v13, -0.5, v28
	v_sub_f16_e32 v27, v9, v6
	v_sub_f16_e32 v29, v6, v9
	v_add_f16_e32 v7, v7, v23
	v_add_f16_e32 v14, v14, v15
	;; [unrolled: 1-line block ×3, first 2 shown]
	v_fmamk_f16 v18, v11, 0xbb9c, v10
	v_add_f16_e32 v5, v5, v6
	v_fmamk_f16 v6, v21, 0x3b9c, v16
	v_fmamk_f16 v19, v12, 0x3b9c, v8
	v_fmac_f16_e32 v8, 0xbb9c, v12
	v_fmamk_f16 v20, v22, 0xbb9c, v13
	v_fmac_f16_e32 v13, 0x3b9c, v22
	v_fmac_f16_e32 v10, 0x3b9c, v11
	;; [unrolled: 1-line block ×3, first 2 shown]
	v_add_f16_e32 v17, v26, v27
	v_add_f16_e32 v7, v7, v24
	v_fmac_f16_e32 v18, 0xb8b4, v12
	v_fmac_f16_e32 v6, 0x38b4, v22
	v_add_f16_e32 v4, v4, v29
	v_fmac_f16_e32 v19, 0xb8b4, v11
	v_fmac_f16_e32 v8, 0x38b4, v11
	;; [unrolled: 1-line block ×6, first 2 shown]
	v_add_f16_e32 v7, v7, v25
	v_add_f16_e32 v5, v5, v9
	v_fmac_f16_e32 v18, 0x34f2, v14
	v_fmac_f16_e32 v6, 0x34f2, v17
	;; [unrolled: 1-line block ×8, first 2 shown]
	v_pack_b32_f16 v4, v7, v5
	v_pack_b32_f16 v5, v18, v6
	;; [unrolled: 1-line block ×5, first 2 shown]
	ds_store_2addr_b32 v2, v4, v5 offset1:125
	ds_store_2addr_b32 v3, v6, v7 offset0:122 offset1:247
	ds_store_b32 v2, v8 offset:2000
	s_waitcnt lgkmcnt(0)
	s_barrier
	buffer_gl0_inv
	s_cbranch_vccnz .LBB0_13
; %bb.12:
	s_load_b64 s[0:1], s[0:1], 0x60
	v_mul_lo_u32 v2, v0, s6
	v_dual_mov_b32 v3, 0 :: v_dual_add_nc_u32 v0, 0x200, v1
	s_mulk_i32 s6, 0x7d
	s_mul_i32 s2, s20, s14
	s_mul_i32 s5, s22, s5
	s_mul_hi_u32 s7, s22, s4
	s_mul_i32 s9, s11, s19
	s_delay_alu instid0(VALU_DEP_2)
	v_lshlrev_b64 v[6:7], 2, v[2:3]
	v_add_nc_u32_e32 v2, s6, v2
	s_mul_hi_u32 s11, s10, s19
	s_lshl_b64 s[2:3], s[2:3], 2
	s_mul_i32 s4, s22, s4
	s_add_i32 s5, s7, s5
	s_add_i32 s9, s11, s9
	v_lshlrev_b64 v[8:9], 2, v[2:3]
	v_add_nc_u32_e32 v2, s6, v2
	s_mul_i32 s8, s10, s19
	ds_load_2addr_b32 v[4:5], v1 offset1:125
	s_waitcnt lgkmcnt(0)
	s_add_u32 s2, s0, s2
	s_addc_u32 s3, s1, s3
	s_lshl_b64 s[0:1], s[4:5], 2
	v_lshlrev_b64 v[12:13], 2, v[2:3]
	s_add_u32 s2, s2, s0
	s_addc_u32 s3, s3, s1
	s_lshl_b64 s[0:1], s[8:9], 2
	v_add_nc_u32_e32 v2, s6, v2
	ds_load_2addr_b32 v[10:11], v0 offset0:122 offset1:247
	s_add_u32 s0, s2, s0
	ds_load_b32 v14, v1 offset:2000
	s_addc_u32 s1, s3, s1
	v_add_co_u32 v6, vcc_lo, s0, v6
	v_lshlrev_b64 v[0:1], 2, v[2:3]
	v_add_nc_u32_e32 v2, s6, v2
	v_add_co_ci_u32_e32 v7, vcc_lo, s1, v7, vcc_lo
	v_add_co_u32 v8, vcc_lo, s0, v8
	v_add_co_ci_u32_e32 v9, vcc_lo, s1, v9, vcc_lo
	v_add_co_u32 v12, vcc_lo, s0, v12
	v_lshlrev_b64 v[2:3], 2, v[2:3]
	v_add_co_ci_u32_e32 v13, vcc_lo, s1, v13, vcc_lo
	v_add_co_u32 v0, vcc_lo, s0, v0
	v_add_co_ci_u32_e32 v1, vcc_lo, s1, v1, vcc_lo
	s_delay_alu instid0(VALU_DEP_4)
	v_add_co_u32 v2, vcc_lo, s0, v2
	v_add_co_ci_u32_e32 v3, vcc_lo, s1, v3, vcc_lo
	s_clause 0x1
	global_store_b32 v[6:7], v4, off
	global_store_b32 v[8:9], v5, off
	s_waitcnt lgkmcnt(1)
	s_clause 0x1
	global_store_b32 v[12:13], v10, off
	global_store_b32 v[0:1], v11, off
	s_waitcnt lgkmcnt(0)
	global_store_b32 v[2:3], v14, off
.LBB0_13:
	s_nop 0
	s_sendmsg sendmsg(MSG_DEALLOC_VGPRS)
	s_endpgm
	.section	.rodata,"a",@progbits
	.p2align	6, 0x0
	.amdhsa_kernel fft_rtc_back_len625_factors_5_5_5_5_wgs_125_tpt_125_half_op_CI_CI_sbrc_xy_z_unaligned
		.amdhsa_group_segment_fixed_size 0
		.amdhsa_private_segment_fixed_size 0
		.amdhsa_kernarg_size 104
		.amdhsa_user_sgpr_count 15
		.amdhsa_user_sgpr_dispatch_ptr 0
		.amdhsa_user_sgpr_queue_ptr 0
		.amdhsa_user_sgpr_kernarg_segment_ptr 1
		.amdhsa_user_sgpr_dispatch_id 0
		.amdhsa_user_sgpr_private_segment_size 0
		.amdhsa_wavefront_size32 1
		.amdhsa_uses_dynamic_stack 0
		.amdhsa_enable_private_segment 0
		.amdhsa_system_sgpr_workgroup_id_x 1
		.amdhsa_system_sgpr_workgroup_id_y 0
		.amdhsa_system_sgpr_workgroup_id_z 0
		.amdhsa_system_sgpr_workgroup_info 0
		.amdhsa_system_vgpr_workitem_id 0
		.amdhsa_next_free_vgpr 35
		.amdhsa_next_free_sgpr 30
		.amdhsa_reserve_vcc 1
		.amdhsa_float_round_mode_32 0
		.amdhsa_float_round_mode_16_64 0
		.amdhsa_float_denorm_mode_32 3
		.amdhsa_float_denorm_mode_16_64 3
		.amdhsa_dx10_clamp 1
		.amdhsa_ieee_mode 1
		.amdhsa_fp16_overflow 0
		.amdhsa_workgroup_processor_mode 1
		.amdhsa_memory_ordered 1
		.amdhsa_forward_progress 0
		.amdhsa_shared_vgpr_count 0
		.amdhsa_exception_fp_ieee_invalid_op 0
		.amdhsa_exception_fp_denorm_src 0
		.amdhsa_exception_fp_ieee_div_zero 0
		.amdhsa_exception_fp_ieee_overflow 0
		.amdhsa_exception_fp_ieee_underflow 0
		.amdhsa_exception_fp_ieee_inexact 0
		.amdhsa_exception_int_div_zero 0
	.end_amdhsa_kernel
	.text
.Lfunc_end0:
	.size	fft_rtc_back_len625_factors_5_5_5_5_wgs_125_tpt_125_half_op_CI_CI_sbrc_xy_z_unaligned, .Lfunc_end0-fft_rtc_back_len625_factors_5_5_5_5_wgs_125_tpt_125_half_op_CI_CI_sbrc_xy_z_unaligned
                                        ; -- End function
	.section	.AMDGPU.csdata,"",@progbits
; Kernel info:
; codeLenInByte = 4076
; NumSgprs: 32
; NumVgprs: 35
; ScratchSize: 0
; MemoryBound: 0
; FloatMode: 240
; IeeeMode: 1
; LDSByteSize: 0 bytes/workgroup (compile time only)
; SGPRBlocks: 3
; VGPRBlocks: 4
; NumSGPRsForWavesPerEU: 32
; NumVGPRsForWavesPerEU: 35
; Occupancy: 16
; WaveLimiterHint : 1
; COMPUTE_PGM_RSRC2:SCRATCH_EN: 0
; COMPUTE_PGM_RSRC2:USER_SGPR: 15
; COMPUTE_PGM_RSRC2:TRAP_HANDLER: 0
; COMPUTE_PGM_RSRC2:TGID_X_EN: 1
; COMPUTE_PGM_RSRC2:TGID_Y_EN: 0
; COMPUTE_PGM_RSRC2:TGID_Z_EN: 0
; COMPUTE_PGM_RSRC2:TIDIG_COMP_CNT: 0
	.text
	.p2alignl 7, 3214868480
	.fill 96, 4, 3214868480
	.type	__hip_cuid_d4fbbbe06ba72018,@object ; @__hip_cuid_d4fbbbe06ba72018
	.section	.bss,"aw",@nobits
	.globl	__hip_cuid_d4fbbbe06ba72018
__hip_cuid_d4fbbbe06ba72018:
	.byte	0                               ; 0x0
	.size	__hip_cuid_d4fbbbe06ba72018, 1

	.ident	"AMD clang version 19.0.0git (https://github.com/RadeonOpenCompute/llvm-project roc-6.4.0 25133 c7fe45cf4b819c5991fe208aaa96edf142730f1d)"
	.section	".note.GNU-stack","",@progbits
	.addrsig
	.addrsig_sym __hip_cuid_d4fbbbe06ba72018
	.amdgpu_metadata
---
amdhsa.kernels:
  - .args:
      - .actual_access:  read_only
        .address_space:  global
        .offset:         0
        .size:           8
        .value_kind:     global_buffer
      - .offset:         8
        .size:           8
        .value_kind:     by_value
      - .actual_access:  read_only
        .address_space:  global
        .offset:         16
        .size:           8
        .value_kind:     global_buffer
      - .actual_access:  read_only
        .address_space:  global
        .offset:         24
        .size:           8
        .value_kind:     global_buffer
      - .actual_access:  read_only
        .address_space:  global
        .offset:         32
        .size:           8
        .value_kind:     global_buffer
      - .offset:         40
        .size:           8
        .value_kind:     by_value
      - .actual_access:  read_only
        .address_space:  global
        .offset:         48
        .size:           8
        .value_kind:     global_buffer
      - .actual_access:  read_only
        .address_space:  global
        .offset:         56
        .size:           8
        .value_kind:     global_buffer
      - .offset:         64
        .size:           4
        .value_kind:     by_value
      - .actual_access:  read_only
        .address_space:  global
        .offset:         72
        .size:           8
        .value_kind:     global_buffer
      - .actual_access:  read_only
        .address_space:  global
        .offset:         80
        .size:           8
        .value_kind:     global_buffer
      - .actual_access:  read_only
        .address_space:  global
        .offset:         88
        .size:           8
        .value_kind:     global_buffer
      - .actual_access:  write_only
        .address_space:  global
        .offset:         96
        .size:           8
        .value_kind:     global_buffer
    .group_segment_fixed_size: 0
    .kernarg_segment_align: 8
    .kernarg_segment_size: 104
    .language:       OpenCL C
    .language_version:
      - 2
      - 0
    .max_flat_workgroup_size: 125
    .name:           fft_rtc_back_len625_factors_5_5_5_5_wgs_125_tpt_125_half_op_CI_CI_sbrc_xy_z_unaligned
    .private_segment_fixed_size: 0
    .sgpr_count:     32
    .sgpr_spill_count: 0
    .symbol:         fft_rtc_back_len625_factors_5_5_5_5_wgs_125_tpt_125_half_op_CI_CI_sbrc_xy_z_unaligned.kd
    .uniform_work_group_size: 1
    .uses_dynamic_stack: false
    .vgpr_count:     35
    .vgpr_spill_count: 0
    .wavefront_size: 32
    .workgroup_processor_mode: 1
amdhsa.target:   amdgcn-amd-amdhsa--gfx1100
amdhsa.version:
  - 1
  - 2
...

	.end_amdgpu_metadata
